;; amdgpu-corpus repo=ROCm/rocFFT kind=compiled arch=gfx906 opt=O3
	.text
	.amdgcn_target "amdgcn-amd-amdhsa--gfx906"
	.amdhsa_code_object_version 6
	.protected	bluestein_single_fwd_len90_dim1_dp_op_CI_CI ; -- Begin function bluestein_single_fwd_len90_dim1_dp_op_CI_CI
	.globl	bluestein_single_fwd_len90_dim1_dp_op_CI_CI
	.p2align	8
	.type	bluestein_single_fwd_len90_dim1_dp_op_CI_CI,@function
bluestein_single_fwd_len90_dim1_dp_op_CI_CI: ; @bluestein_single_fwd_len90_dim1_dp_op_CI_CI
; %bb.0:
	v_mul_u32_u24_e32 v1, 0x1c72, v0
	s_load_dwordx4 s[12:15], s[4:5], 0x28
	v_lshrrev_b32_e32 v1, 16, v1
	v_mad_u64_u32 v[152:153], s[0:1], s6, 7, v[1:2]
	v_mov_b32_e32 v153, 0
	s_waitcnt lgkmcnt(0)
	v_cmp_gt_u64_e32 vcc, s[12:13], v[152:153]
	s_and_saveexec_b64 s[0:1], vcc
	s_cbranch_execz .LBB0_23
; %bb.1:
	s_load_dwordx4 s[0:3], s[4:5], 0x18
	s_load_dwordx2 s[12:13], s[4:5], 0x0
	v_mul_lo_u16_e32 v1, 9, v1
	v_sub_u16_e32 v155, v0, v1
	v_lshlrev_b32_e32 v78, 4, v155
	s_waitcnt lgkmcnt(0)
	s_load_dwordx4 s[8:11], s[0:1], 0x0
	v_or_b32_e32 v157, 48, v155
	s_waitcnt lgkmcnt(0)
	v_mad_u64_u32 v[0:1], s[0:1], s10, v152, 0
	v_mad_u64_u32 v[2:3], s[0:1], s8, v155, 0
	;; [unrolled: 1-line block ×4, first 2 shown]
	v_mov_b32_e32 v1, v4
	v_lshlrev_b64 v[0:1], 4, v[0:1]
	v_mov_b32_e32 v6, s15
	v_mov_b32_e32 v3, v5
	v_add_co_u32_e32 v17, vcc, s14, v0
	v_addc_co_u32_e32 v18, vcc, v6, v1, vcc
	v_lshlrev_b64 v[0:1], 4, v[2:3]
	s_mul_i32 s0, s9, 30
	s_mul_hi_u32 s1, s8, 30
	v_add_co_u32_e32 v0, vcc, v17, v0
	s_add_i32 s1, s1, s0
	s_mul_i32 s0, s8, 30
	v_addc_co_u32_e32 v1, vcc, v18, v1, vcc
	s_lshl_b64 s[14:15], s[0:1], 4
	v_mov_b32_e32 v16, s15
	v_add_co_u32_e32 v4, vcc, s14, v0
	v_addc_co_u32_e32 v5, vcc, v1, v16, vcc
	global_load_dwordx4 v[38:41], v[0:1], off
	v_add_co_u32_e32 v6, vcc, s14, v4
	global_load_dwordx4 v[0:3], v78, s[12:13] offset:480
	v_addc_co_u32_e32 v7, vcc, v5, v16, vcc
	global_load_dwordx4 v[42:45], v[4:5], off
	global_load_dwordx4 v[46:49], v[6:7], off
	global_load_dwordx4 v[28:31], v78, s[12:13]
	global_load_dwordx4 v[8:11], v78, s[12:13] offset:144
	s_mul_hi_u32 s1, s8, 0xffffffcd
	s_mul_i32 s0, s9, 0xffffffcd
	s_sub_i32 s1, s1, s8
	s_add_i32 s1, s1, s0
	s_mul_i32 s0, s8, 0xffffffcd
	s_lshl_b64 s[0:1], s[0:1], 4
	v_mov_b32_e32 v19, s1
	v_add_co_u32_e32 v12, vcc, s0, v6
	v_addc_co_u32_e32 v13, vcc, v7, v19, vcc
	v_add_co_u32_e32 v14, vcc, s14, v12
	v_addc_co_u32_e32 v15, vcc, v13, v16, vcc
	global_load_dwordx4 v[50:53], v[12:13], off
	global_load_dwordx4 v[54:57], v[14:15], off
	global_load_dwordx4 v[4:7], v78, s[12:13] offset:624
	v_add_co_u32_e32 v12, vcc, s14, v14
	v_addc_co_u32_e32 v13, vcc, v15, v16, vcc
	v_mad_u64_u32 v[14:15], s[6:7], s8, v157, 0
	global_load_dwordx4 v[58:61], v[12:13], off
	global_load_dwordx4 v[32:35], v78, s[12:13] offset:960
	global_load_dwordx4 v[24:27], v78, s[12:13] offset:1104
	v_add_co_u32_e32 v12, vcc, s0, v12
	v_mad_u64_u32 v[15:16], s[6:7], s9, v157, v[15:16]
	v_addc_co_u32_e32 v13, vcc, v13, v19, vcc
	v_lshlrev_b64 v[14:15], 4, v[14:15]
	global_load_dwordx4 v[62:65], v[12:13], off
	global_load_dwordx4 v[20:23], v78, s[12:13] offset:288
	v_add_co_u32_e32 v16, vcc, v17, v14
	v_mov_b32_e32 v14, 0x3c0
	v_mad_u64_u32 v[36:37], s[6:7], s8, v14, v[12:13]
	v_addc_co_u32_e32 v17, vcc, v18, v15, vcc
	s_mul_i32 s6, s9, 0x3c0
	global_load_dwordx4 v[66:69], v[16:17], off
	global_load_dwordx4 v[12:15], v78, s[12:13] offset:768
	v_add_u32_e32 v37, s6, v37
	global_load_dwordx4 v[70:73], v[36:37], off
	global_load_dwordx4 v[16:19], v78, s[12:13] offset:1248
	s_mov_b32 s6, 0x24924925
	v_mul_hi_u32 v74, v152, s6
	v_add_co_u32_e32 v153, vcc, s12, v78
	s_load_dwordx2 s[6:7], s[4:5], 0x38
	s_load_dwordx4 s[8:11], s[2:3], 0x0
	v_sub_u32_e32 v75, v152, v74
	v_lshrrev_b32_e32 v75, 1, v75
	v_add_u32_e32 v74, v75, v74
	v_lshrrev_b32_e32 v79, 2, v74
	v_mul_lo_u32 v79, v79, 7
	v_sub_u32_e32 v79, v152, v79
	v_mul_u32_u24_e32 v79, 0x5a, v79
	v_lshlrev_b32_e32 v158, 4, v79
	v_add_u32_e32 v156, v78, v158
	s_waitcnt vmcnt(13)
	v_mul_f64 v[74:75], v[40:41], v[30:31]
	v_mul_f64 v[76:77], v[38:39], v[30:31]
	v_fma_f64 v[38:39], v[38:39], v[28:29], v[74:75]
	v_fma_f64 v[40:41], v[40:41], v[28:29], -v[76:77]
	v_mov_b32_e32 v74, s13
	v_addc_co_u32_e32 v154, vcc, 0, v74, vcc
	v_cmp_gt_u16_e32 vcc, 3, v155
	s_waitcnt vmcnt(11)
	v_mul_f64 v[78:79], v[52:53], v[10:11]
	v_mul_f64 v[80:81], v[50:51], v[10:11]
	ds_write_b128 v156, v[38:41]
	v_mul_f64 v[38:39], v[44:45], v[2:3]
	v_mul_f64 v[40:41], v[42:43], v[2:3]
	s_waitcnt vmcnt(9)
	v_mul_f64 v[82:83], v[56:57], v[6:7]
	v_mul_f64 v[84:85], v[54:55], v[6:7]
	s_waitcnt vmcnt(7)
	v_mul_f64 v[74:75], v[48:49], v[34:35]
	v_mul_f64 v[76:77], v[46:47], v[34:35]
	v_fma_f64 v[38:39], v[42:43], v[0:1], v[38:39]
	v_fma_f64 v[40:41], v[44:45], v[0:1], -v[40:41]
	v_fma_f64 v[42:43], v[46:47], v[32:33], v[74:75]
	v_fma_f64 v[44:45], v[48:49], v[32:33], -v[76:77]
	;; [unrolled: 2-line block ×4, first 2 shown]
	s_waitcnt vmcnt(6)
	v_mul_f64 v[54:55], v[60:61], v[26:27]
	v_mul_f64 v[56:57], v[58:59], v[26:27]
	s_waitcnt vmcnt(4)
	v_mul_f64 v[74:75], v[64:65], v[22:23]
	v_mul_f64 v[76:77], v[62:63], v[22:23]
	;; [unrolled: 3-line block ×4, first 2 shown]
	v_fma_f64 v[54:55], v[58:59], v[24:25], v[54:55]
	v_fma_f64 v[56:57], v[60:61], v[24:25], -v[56:57]
	v_fma_f64 v[58:59], v[62:63], v[20:21], v[74:75]
	v_fma_f64 v[60:61], v[64:65], v[20:21], -v[76:77]
	;; [unrolled: 2-line block ×4, first 2 shown]
	ds_write_b128 v156, v[38:41] offset:480
	ds_write_b128 v156, v[42:45] offset:960
	ds_write_b128 v156, v[46:49] offset:144
	ds_write_b128 v156, v[50:53] offset:624
	ds_write_b128 v156, v[54:57] offset:1104
	ds_write_b128 v156, v[58:61] offset:288
	ds_write_b128 v156, v[62:65] offset:768
	ds_write_b128 v156, v[66:69] offset:1248
	s_and_saveexec_b64 s[2:3], vcc
	s_cbranch_execz .LBB0_3
; %bb.2:
	v_mov_b32_e32 v38, s1
	v_add_co_u32_e64 v40, s[0:1], s0, v36
	v_addc_co_u32_e64 v41, s[0:1], v37, v38, s[0:1]
	v_mov_b32_e32 v54, s15
	v_add_co_u32_e64 v52, s[0:1], s14, v40
	global_load_dwordx4 v[36:39], v[40:41], off
	v_addc_co_u32_e64 v53, s[0:1], v41, v54, s[0:1]
	global_load_dwordx4 v[40:43], v[52:53], off
	global_load_dwordx4 v[44:47], v[153:154], off offset:432
	global_load_dwordx4 v[48:51], v[153:154], off offset:912
	v_add_co_u32_e64 v60, s[0:1], s14, v52
	v_addc_co_u32_e64 v61, s[0:1], v53, v54, s[0:1]
	global_load_dwordx4 v[52:55], v[153:154], off offset:1392
	global_load_dwordx4 v[56:59], v[60:61], off
	s_waitcnt vmcnt(3)
	v_mul_f64 v[60:61], v[38:39], v[46:47]
	v_mul_f64 v[46:47], v[36:37], v[46:47]
	s_waitcnt vmcnt(2)
	v_mul_f64 v[62:63], v[42:43], v[50:51]
	v_mul_f64 v[50:51], v[40:41], v[50:51]
	;; [unrolled: 3-line block ×3, first 2 shown]
	v_fma_f64 v[36:37], v[36:37], v[44:45], v[60:61]
	v_fma_f64 v[38:39], v[38:39], v[44:45], -v[46:47]
	v_fma_f64 v[40:41], v[40:41], v[48:49], v[62:63]
	v_fma_f64 v[42:43], v[42:43], v[48:49], -v[50:51]
	v_fma_f64 v[44:45], v[56:57], v[52:53], v[64:65]
	v_fma_f64 v[46:47], v[58:59], v[52:53], -v[54:55]
	ds_write_b128 v156, v[36:39] offset:432
	ds_write_b128 v156, v[40:43] offset:912
	;; [unrolled: 1-line block ×3, first 2 shown]
.LBB0_3:
	s_or_b64 exec, exec, s[2:3]
	s_waitcnt lgkmcnt(0)
	; wave barrier
	s_waitcnt lgkmcnt(0)
	ds_read_b128 v[72:75], v156
	ds_read_b128 v[64:67], v156 offset:144
	ds_read_b128 v[76:79], v156 offset:960
	;; [unrolled: 1-line block ×8, first 2 shown]
                                        ; implicit-def: $vgpr40_vgpr41
                                        ; implicit-def: $vgpr52_vgpr53
                                        ; implicit-def: $vgpr56_vgpr57
	s_and_saveexec_b64 s[0:1], vcc
	s_cbranch_execz .LBB0_5
; %bb.4:
	ds_read_b128 v[40:43], v156 offset:432
	ds_read_b128 v[52:55], v156 offset:912
	;; [unrolled: 1-line block ×3, first 2 shown]
.LBB0_5:
	s_or_b64 exec, exec, s[0:1]
	s_waitcnt lgkmcnt(4)
	v_add_f64 v[84:85], v[80:81], v[76:77]
	v_add_f64 v[86:87], v[72:73], v[80:81]
	v_add_f64 v[88:89], v[82:83], -v[78:79]
	v_add_f64 v[90:91], v[82:83], v[78:79]
	v_add_f64 v[82:83], v[74:75], v[82:83]
	v_add_co_u32_e64 v118, s[0:1], 9, v155
	v_add_co_u32_e64 v117, s[0:1], 18, v155
	v_fma_f64 v[84:85], v[84:85], -0.5, v[72:73]
	v_add_co_u32_e64 v116, s[0:1], 27, v155
	s_mov_b32 s0, 0xe8584caa
	s_load_dwordx2 s[2:3], s[4:5], 0x8
	s_mov_b32 s1, 0x3febb67a
	s_mov_b32 s5, 0xbfebb67a
	;; [unrolled: 1-line block ×3, first 2 shown]
	v_add_f64 v[72:73], v[86:87], v[76:77]
	v_fma_f64 v[92:93], v[88:89], s[0:1], v[84:85]
	v_fma_f64 v[90:91], v[90:91], -0.5, v[74:75]
	v_add_f64 v[80:81], v[80:81], -v[76:77]
	v_fma_f64 v[76:77], v[88:89], s[4:5], v[84:85]
	v_add_f64 v[74:75], v[82:83], v[78:79]
	s_waitcnt lgkmcnt(0)
	v_add_f64 v[82:83], v[70:71], v[62:63]
	v_add_f64 v[84:85], v[64:65], v[68:69]
	;; [unrolled: 1-line block ×3, first 2 shown]
	v_add_f64 v[88:89], v[70:71], -v[62:63]
	v_add_f64 v[96:97], v[48:49], v[36:37]
	v_add_f64 v[70:71], v[66:67], v[70:71]
	v_add_f64 v[68:69], v[68:69], -v[60:61]
	v_fma_f64 v[94:95], v[80:81], s[4:5], v[90:91]
	v_fma_f64 v[82:83], v[82:83], -0.5, v[66:67]
	v_add_f64 v[60:61], v[84:85], v[60:61]
	v_add_f64 v[84:85], v[44:45], v[48:49]
	v_fma_f64 v[86:87], v[86:87], -0.5, v[64:65]
	v_fma_f64 v[78:79], v[80:81], s[0:1], v[90:91]
	v_fma_f64 v[90:91], v[96:97], -0.5, v[44:45]
	v_add_f64 v[62:63], v[70:71], v[62:63]
	v_add_f64 v[70:71], v[50:51], v[38:39]
	v_fma_f64 v[66:67], v[68:69], s[4:5], v[82:83]
	v_fma_f64 v[82:83], v[68:69], s[0:1], v[82:83]
	v_add_f64 v[44:45], v[84:85], v[36:37]
	v_add_f64 v[68:69], v[52:53], v[56:57]
	;; [unrolled: 1-line block ×3, first 2 shown]
	v_fma_f64 v[64:65], v[88:89], s[0:1], v[86:87]
	v_add_f64 v[98:99], v[50:51], -v[38:39]
	v_fma_f64 v[80:81], v[88:89], s[4:5], v[86:87]
	v_add_f64 v[50:51], v[46:47], v[50:51]
	v_fma_f64 v[70:71], v[70:71], -0.5, v[46:47]
	v_add_f64 v[36:37], v[48:49], -v[36:37]
	v_add_f64 v[48:49], v[40:41], v[52:53]
	v_fma_f64 v[40:41], v[68:69], -0.5, v[40:41]
	v_add_f64 v[86:87], v[54:55], -v[58:59]
	v_add_f64 v[54:55], v[42:43], v[54:55]
	v_fma_f64 v[42:43], v[84:85], -0.5, v[42:43]
	v_add_f64 v[52:53], v[52:53], -v[56:57]
	v_fma_f64 v[96:97], v[98:99], s[0:1], v[90:91]
	v_fma_f64 v[100:101], v[98:99], s[4:5], v[90:91]
	v_add_f64 v[46:47], v[50:51], v[38:39]
	v_fma_f64 v[98:99], v[36:37], s[4:5], v[70:71]
	v_fma_f64 v[102:103], v[36:37], s[0:1], v[70:71]
	v_add_f64 v[68:69], v[48:49], v[56:57]
	;; [unrolled: 3-line block ×3, first 2 shown]
	v_fma_f64 v[86:87], v[52:53], s[4:5], v[42:43]
	v_fma_f64 v[90:91], v[52:53], s[0:1], v[42:43]
	v_mul_lo_u16_e32 v36, 3, v155
	v_lshl_add_u32 v160, v36, 4, v158
	v_mul_u32_u24_e32 v36, 3, v118
	v_lshl_add_u32 v161, v36, 4, v158
	v_mul_u32_u24_e32 v36, 3, v117
	;; [unrolled: 2-line block ×3, first 2 shown]
	s_waitcnt lgkmcnt(0)
	; wave barrier
	ds_write_b128 v160, v[72:75]
	ds_write_b128 v160, v[92:95] offset:16
	ds_write_b128 v160, v[76:79] offset:32
	ds_write_b128 v161, v[60:63]
	ds_write_b128 v161, v[64:67] offset:16
	ds_write_b128 v161, v[80:83] offset:32
	;; [unrolled: 3-line block ×3, first 2 shown]
	s_and_saveexec_b64 s[0:1], vcc
	s_cbranch_execz .LBB0_7
; %bb.6:
	v_lshl_add_u32 v36, v163, 4, v158
	ds_write_b128 v36, v[68:71]
	ds_write_b128 v36, v[84:87] offset:16
	ds_write_b128 v36, v[88:91] offset:32
.LBB0_7:
	s_or_b64 exec, exec, s[0:1]
	s_waitcnt lgkmcnt(0)
	; wave barrier
	s_waitcnt lgkmcnt(0)
	ds_read_b128 v[76:79], v156
	ds_read_b128 v[72:75], v156 offset:144
	ds_read_b128 v[96:99], v156 offset:960
	;; [unrolled: 1-line block ×8, first 2 shown]
	s_and_saveexec_b64 s[0:1], vcc
	s_cbranch_execz .LBB0_9
; %bb.8:
	ds_read_b128 v[68:71], v156 offset:432
	ds_read_b128 v[84:87], v156 offset:912
	;; [unrolled: 1-line block ×3, first 2 shown]
.LBB0_9:
	s_or_b64 exec, exec, s[0:1]
	s_movk_i32 s0, 0xab
	v_mul_lo_u16_sdwa v36, v155, s0 dst_sel:DWORD dst_unused:UNUSED_PAD src0_sel:BYTE_0 src1_sel:DWORD
	v_lshrrev_b16_e32 v164, 9, v36
	v_mul_lo_u16_e32 v36, 3, v164
	v_sub_u16_e32 v165, v155, v36
	v_lshlrev_b16_e32 v36, 1, v165
	v_and_b32_e32 v36, 0xfe, v36
	v_lshlrev_b32_e32 v36, 4, v36
	global_load_dwordx4 v[44:47], v36, s[2:3] offset:16
	global_load_dwordx4 v[48:51], v36, s[2:3]
	v_mul_lo_u16_sdwa v36, v118, s0 dst_sel:DWORD dst_unused:UNUSED_PAD src0_sel:BYTE_0 src1_sel:DWORD
	v_lshrrev_b16_e32 v166, 9, v36
	v_mul_lo_u16_e32 v36, 3, v166
	v_mul_lo_u16_sdwa v37, v117, s0 dst_sel:DWORD dst_unused:UNUSED_PAD src0_sel:BYTE_0 src1_sel:DWORD
	v_sub_u16_e32 v167, v118, v36
	v_lshrrev_b16_e32 v168, 9, v37
	v_lshlrev_b16_e32 v36, 1, v167
	v_mul_lo_u16_e32 v37, 3, v168
	v_sub_u16_e32 v169, v117, v37
	v_mov_b32_e32 v37, 5
	v_and_b32_e32 v36, 0xfe, v36
	v_lshlrev_b32_sdwa v37, v37, v169 dst_sel:DWORD dst_unused:UNUSED_PAD src0_sel:DWORD src1_sel:BYTE_0
	v_lshlrev_b32_e32 v36, 4, v36
	global_load_dwordx4 v[52:55], v37, s[2:3] offset:16
	global_load_dwordx4 v[56:59], v37, s[2:3]
	global_load_dwordx4 v[60:63], v36, s[2:3] offset:16
	global_load_dwordx4 v[64:67], v36, s[2:3]
	v_mul_lo_u16_sdwa v36, v116, s0 dst_sel:DWORD dst_unused:UNUSED_PAD src0_sel:BYTE_0 src1_sel:DWORD
	v_lshrrev_b16_e32 v36, 9, v36
	v_mul_lo_u16_e32 v36, 3, v36
	v_sub_u16_e32 v159, v116, v36
	v_lshlrev_b16_e32 v36, 1, v159
	v_and_b32_e32 v36, 0xfe, v36
	v_lshlrev_b32_e32 v36, 4, v36
	global_load_dwordx4 v[40:43], v36, s[2:3]
	s_nop 0
	global_load_dwordx4 v[36:39], v36, s[2:3] offset:16
	s_mov_b32 s0, 0xe8584caa
	s_mov_b32 s1, 0x3febb67a
	;; [unrolled: 1-line block ×3, first 2 shown]
	s_waitcnt lgkmcnt(0)
	; wave barrier
	s_waitcnt vmcnt(7) lgkmcnt(0)
	v_mul_f64 v[128:129], v[98:99], v[46:47]
	s_waitcnt vmcnt(6)
	v_mul_f64 v[124:125], v[106:107], v[50:51]
	v_mul_f64 v[126:127], v[104:105], v[50:51]
	;; [unrolled: 1-line block ×3, first 2 shown]
	v_fma_f64 v[104:105], v[104:105], v[48:49], -v[124:125]
	v_fma_f64 v[106:107], v[106:107], v[48:49], v[126:127]
	v_fma_f64 v[98:99], v[98:99], v[44:45], v[130:131]
	s_waitcnt vmcnt(5)
	v_mul_f64 v[122:123], v[108:109], v[54:55]
	s_waitcnt vmcnt(4)
	v_mul_f64 v[116:117], v[114:115], v[58:59]
	v_mul_f64 v[118:119], v[112:113], v[58:59]
	;; [unrolled: 1-line block ×3, first 2 shown]
	s_waitcnt vmcnt(2)
	v_mul_f64 v[132:133], v[102:103], v[66:67]
	v_mul_f64 v[134:135], v[100:101], v[66:67]
	;; [unrolled: 1-line block ×4, first 2 shown]
	v_fma_f64 v[110:111], v[110:111], v[52:53], v[122:123]
	s_waitcnt vmcnt(1)
	v_mul_f64 v[140:141], v[86:87], v[42:43]
	v_mul_f64 v[142:143], v[84:85], v[42:43]
	s_waitcnt vmcnt(0)
	v_mul_f64 v[144:145], v[90:91], v[38:39]
	v_mul_f64 v[146:147], v[88:89], v[38:39]
	v_fma_f64 v[112:113], v[112:113], v[56:57], -v[116:117]
	v_fma_f64 v[114:115], v[114:115], v[56:57], v[118:119]
	v_fma_f64 v[116:117], v[96:97], v[44:45], -v[128:129]
	v_fma_f64 v[108:109], v[108:109], v[52:53], -v[120:121]
	;; [unrolled: 1-line block ×3, first 2 shown]
	v_fma_f64 v[100:101], v[102:103], v[64:65], v[134:135]
	v_fma_f64 v[102:103], v[92:93], v[60:61], -v[136:137]
	v_fma_f64 v[118:119], v[94:95], v[60:61], v[138:139]
	v_fma_f64 v[84:85], v[84:85], v[40:41], -v[140:141]
	;; [unrolled: 2-line block ×3, first 2 shown]
	v_fma_f64 v[88:89], v[90:91], v[36:37], v[146:147]
	v_add_f64 v[90:91], v[80:81], v[112:113]
	v_add_f64 v[122:123], v[114:115], -v[110:111]
	v_add_f64 v[124:125], v[82:83], v[114:115]
	v_add_f64 v[114:115], v[114:115], v[110:111]
	;; [unrolled: 1-line block ×3, first 2 shown]
	v_add_f64 v[130:131], v[106:107], -v[98:99]
	v_add_f64 v[132:133], v[78:79], v[106:107]
	v_add_f64 v[106:107], v[106:107], v[98:99]
	;; [unrolled: 1-line block ×6, first 2 shown]
	v_add_f64 v[138:139], v[100:101], -v[118:119]
	v_add_f64 v[140:141], v[74:75], v[100:101]
	v_add_f64 v[100:101], v[100:101], v[118:119]
	;; [unrolled: 1-line block ×4, first 2 shown]
	v_add_f64 v[112:113], v[112:113], -v[108:109]
	v_add_f64 v[104:105], v[104:105], -v[116:117]
	;; [unrolled: 1-line block ×3, first 2 shown]
	v_add_f64 v[94:95], v[90:91], v[108:109]
	v_add_f64 v[96:97], v[124:125], v[110:111]
	v_fma_f64 v[108:109], v[114:115], -0.5, v[82:83]
	v_fma_f64 v[110:111], v[128:129], -0.5, v[76:77]
	;; [unrolled: 1-line block ×4, first 2 shown]
	v_add_f64 v[80:81], v[126:127], v[116:117]
	v_add_f64 v[76:77], v[134:135], v[102:103]
	v_fma_f64 v[102:103], v[136:137], -0.5, v[72:73]
	v_fma_f64 v[126:127], v[100:101], -0.5, v[74:75]
	v_add_f64 v[146:147], v[92:93], -v[88:89]
	v_add_f64 v[150:151], v[84:85], -v[86:87]
	v_add_f64 v[82:83], v[132:133], v[98:99]
	v_fma_f64 v[128:129], v[144:145], -0.5, v[68:69]
	v_fma_f64 v[132:133], v[148:149], -0.5, v[70:71]
	v_fma_f64 v[74:75], v[112:113], s[4:5], v[108:109]
	v_fma_f64 v[100:101], v[112:113], s[0:1], v[108:109]
	;; [unrolled: 1-line block ×4, first 2 shown]
	v_add_f64 v[78:79], v[140:141], v[118:119]
	v_fma_f64 v[116:117], v[130:131], s[4:5], v[110:111]
	v_fma_f64 v[118:119], v[104:105], s[0:1], v[106:107]
	;; [unrolled: 1-line block ×8, first 2 shown]
	v_mad_legacy_u16 v90, v164, 9, v165
	v_fma_f64 v[104:105], v[146:147], s[0:1], v[128:129]
	v_fma_f64 v[108:109], v[146:147], s[4:5], v[128:129]
	;; [unrolled: 1-line block ×4, first 2 shown]
	v_and_b32_e32 v90, 0xff, v90
	v_lshl_add_u32 v164, v90, 4, v158
	ds_write_b128 v164, v[80:83]
	ds_write_b128 v164, v[112:115] offset:48
	ds_write_b128 v164, v[116:119] offset:96
	v_mad_legacy_u16 v80, v166, 9, v167
	v_and_b32_e32 v80, 0xff, v80
	v_lshl_add_u32 v165, v80, 4, v158
	ds_write_b128 v165, v[76:79]
	ds_write_b128 v165, v[120:123] offset:48
	ds_write_b128 v165, v[124:127] offset:96
	v_mul_u32_u24_e32 v76, 9, v168
	v_add_u32_sdwa v76, v76, v169 dst_sel:DWORD dst_unused:UNUSED_PAD src0_sel:DWORD src1_sel:BYTE_0
	v_lshl_add_u32 v166, v76, 4, v158
	ds_write_b128 v166, v[94:97]
	ds_write_b128 v166, v[72:75] offset:48
	ds_write_b128 v166, v[98:101] offset:96
	s_and_saveexec_b64 s[0:1], vcc
	s_cbranch_execz .LBB0_11
; %bb.10:
	v_add_f64 v[70:71], v[70:71], v[92:93]
	v_add_f64 v[68:69], v[68:69], v[84:85]
	v_and_b32_e32 v72, 0xff, v159
	v_lshl_add_u32 v72, v72, 4, v158
	v_add_f64 v[70:71], v[70:71], v[88:89]
	v_add_f64 v[68:69], v[68:69], v[86:87]
	ds_write_b128 v72, v[104:107] offset:1344
	ds_write_b128 v72, v[68:71] offset:1296
	ds_write_b128 v72, v[108:111] offset:1392
.LBB0_11:
	s_or_b64 exec, exec, s[0:1]
	v_mov_b32_e32 v69, s3
	s_movk_i32 s0, 0x90
	v_mov_b32_e32 v68, s2
	v_mad_u64_u32 v[100:101], s[0:1], v155, s0, v[68:69]
	s_waitcnt lgkmcnt(0)
	; wave barrier
	s_waitcnt lgkmcnt(0)
	global_load_dwordx4 v[84:87], v[100:101], off offset:96
	global_load_dwordx4 v[76:79], v[100:101], off offset:112
	;; [unrolled: 1-line block ×8, first 2 shown]
	s_nop 0
	global_load_dwordx4 v[100:103], v[100:101], off offset:224
	ds_read_b128 v[112:115], v156
	ds_read_b128 v[116:119], v156 offset:144
	ds_read_b128 v[120:123], v156 offset:288
	;; [unrolled: 1-line block ×9, first 2 shown]
	s_mov_b32 s0, 0x134454ff
	s_mov_b32 s1, 0x3fee6f0e
	s_mov_b32 s15, 0xbfee6f0e
	s_mov_b32 s14, s0
	s_mov_b32 s2, 0x4755a5e
	s_mov_b32 s3, 0x3fe2cf23
	s_mov_b32 s17, 0xbfe2cf23
	s_mov_b32 s16, s2
	s_mov_b32 s4, 0x372fe950
	s_mov_b32 s5, 0x3fd3c6ef
	s_mov_b32 s18, 0x9b97f4a8
	s_mov_b32 s19, 0x3fe9e377
	s_waitcnt vmcnt(8) lgkmcnt(8)
	v_mul_f64 v[167:168], v[118:119], v[86:87]
	s_waitcnt vmcnt(7) lgkmcnt(7)
	v_mul_f64 v[171:172], v[122:123], v[78:79]
	v_mul_f64 v[173:174], v[120:121], v[78:79]
	s_waitcnt vmcnt(5) lgkmcnt(5)
	v_mul_f64 v[179:180], v[130:131], v[70:71]
	;; [unrolled: 3-line block ×4, first 2 shown]
	v_mul_f64 v[169:170], v[116:117], v[86:87]
	v_mul_f64 v[175:176], v[126:127], v[74:75]
	;; [unrolled: 1-line block ×7, first 2 shown]
	v_fma_f64 v[120:121], v[120:121], v[76:77], -v[171:172]
	v_fma_f64 v[122:123], v[122:123], v[76:77], v[173:174]
	v_fma_f64 v[128:129], v[128:129], v[68:69], -v[179:180]
	v_fma_f64 v[130:131], v[130:131], v[68:69], v[181:182]
	;; [unrolled: 2-line block ×3, first 2 shown]
	v_fma_f64 v[144:145], v[144:145], v[92:93], -v[195:196]
	v_mul_f64 v[193:194], v[140:141], v[82:83]
	s_waitcnt vmcnt(0) lgkmcnt(0)
	v_mul_f64 v[201:202], v[148:149], v[102:103]
	v_fma_f64 v[116:117], v[116:117], v[84:85], -v[167:168]
	v_fma_f64 v[118:119], v[118:119], v[84:85], v[169:170]
	v_fma_f64 v[124:125], v[124:125], v[72:73], -v[175:176]
	v_fma_f64 v[126:127], v[126:127], v[72:73], v[177:178]
	;; [unrolled: 2-line block ×3, first 2 shown]
	v_fma_f64 v[146:147], v[146:147], v[92:93], v[197:198]
	v_fma_f64 v[140:141], v[140:141], v[80:81], -v[191:192]
	v_add_f64 v[167:168], v[112:113], v[120:121]
	v_add_f64 v[169:170], v[128:129], v[136:137]
	v_add_f64 v[175:176], v[120:121], -v[128:129]
	v_add_f64 v[177:178], v[144:145], -v[136:137]
	v_add_f64 v[179:180], v[120:121], v[144:145]
	v_add_f64 v[185:186], v[114:115], v[122:123]
	;; [unrolled: 1-line block ×3, first 2 shown]
	v_mul_f64 v[199:200], v[150:151], v[102:103]
	v_fma_f64 v[150:151], v[150:151], v[100:101], v[201:202]
	v_add_f64 v[171:172], v[122:123], -v[146:147]
	v_add_f64 v[173:174], v[130:131], -v[138:139]
	;; [unrolled: 1-line block ×7, first 2 shown]
	v_add_f64 v[195:196], v[122:123], v[146:147]
	v_add_f64 v[122:123], v[130:131], -v[122:123]
	v_add_f64 v[201:202], v[132:133], v[140:141]
	v_add_f64 v[128:129], v[167:168], v[128:129]
	v_fma_f64 v[167:168], v[169:170], -0.5, v[112:113]
	v_add_f64 v[169:170], v[175:176], v[177:178]
	v_fma_f64 v[112:113], v[179:180], -0.5, v[112:113]
	;; [unrolled: 2-line block ×3, first 2 shown]
	v_fma_f64 v[142:143], v[142:143], v[80:81], v[193:194]
	v_fma_f64 v[148:149], v[148:149], v[100:101], -v[199:200]
	v_add_f64 v[193:194], v[146:147], -v[138:139]
	v_add_f64 v[197:198], v[138:139], -v[146:147]
	v_add_f64 v[199:200], v[116:117], v[124:125]
	v_add_f64 v[203:204], v[126:127], -v[150:151]
	v_add_f64 v[175:176], v[181:182], v[183:184]
	v_fma_f64 v[114:115], v[195:196], -0.5, v[114:115]
	v_fma_f64 v[183:184], v[201:202], -0.5, v[116:117]
	v_add_f64 v[128:129], v[128:129], v[136:137]
	v_fma_f64 v[136:137], v[171:172], s[0:1], v[167:168]
	v_fma_f64 v[167:168], v[171:172], s[14:15], v[167:168]
	;; [unrolled: 1-line block ×4, first 2 shown]
	v_add_f64 v[130:131], v[130:131], v[138:139]
	v_fma_f64 v[138:139], v[120:121], s[14:15], v[177:178]
	v_add_f64 v[205:206], v[134:135], -v[142:143]
	v_add_f64 v[207:208], v[124:125], -v[132:133]
	;; [unrolled: 1-line block ×3, first 2 shown]
	v_add_f64 v[179:180], v[191:192], v[193:194]
	v_add_f64 v[181:182], v[199:200], v[132:133]
	v_fma_f64 v[187:188], v[189:190], s[0:1], v[114:115]
	v_fma_f64 v[114:115], v[189:190], s[14:15], v[114:115]
	;; [unrolled: 1-line block ×3, first 2 shown]
	v_add_f64 v[144:145], v[128:129], v[144:145]
	v_fma_f64 v[128:129], v[173:174], s[2:3], v[136:137]
	v_fma_f64 v[136:137], v[173:174], s[16:17], v[167:168]
	;; [unrolled: 1-line block ×5, first 2 shown]
	v_add_f64 v[122:123], v[122:123], v[197:198]
	v_fma_f64 v[177:178], v[120:121], s[0:1], v[177:178]
	v_add_f64 v[146:147], v[130:131], v[146:147]
	v_fma_f64 v[130:131], v[120:121], s[16:17], v[187:188]
	v_fma_f64 v[173:174], v[169:170], s[4:5], v[128:129]
	;; [unrolled: 1-line block ×7, first 2 shown]
	v_add_f64 v[120:121], v[181:182], v[140:141]
	v_fma_f64 v[128:129], v[205:206], s[2:3], v[191:192]
	v_add_f64 v[136:137], v[207:208], v[209:210]
	v_add_f64 v[138:139], v[134:135], v[142:143]
	;; [unrolled: 1-line block ×3, first 2 shown]
	v_fma_f64 v[171:172], v[189:190], s[2:3], v[177:178]
	v_fma_f64 v[177:178], v[122:123], s[4:5], v[130:131]
	;; [unrolled: 1-line block ×3, first 2 shown]
	v_add_f64 v[181:182], v[120:121], v[148:149]
	v_add_f64 v[120:121], v[126:127], v[150:151]
	v_fma_f64 v[122:123], v[136:137], s[4:5], v[128:129]
	v_fma_f64 v[128:129], v[138:139], -0.5, v[118:119]
	v_add_f64 v[138:139], v[124:125], -v[148:149]
	v_fma_f64 v[116:117], v[211:212], -0.5, v[116:117]
	v_fma_f64 v[130:131], v[203:204], s[14:15], v[183:184]
	v_add_f64 v[183:184], v[118:119], v[126:127]
	v_add_f64 v[185:186], v[132:133], -v[140:141]
	v_fma_f64 v[118:119], v[120:121], -0.5, v[118:119]
	v_add_f64 v[120:121], v[132:133], -v[124:125]
	v_add_f64 v[124:125], v[140:141], -v[148:149]
	v_fma_f64 v[132:133], v[138:139], s[14:15], v[128:129]
	v_add_f64 v[140:141], v[126:127], -v[134:135]
	v_add_f64 v[148:149], v[150:151], -v[142:143]
	v_fma_f64 v[171:172], v[179:180], s[4:5], v[171:172]
	v_fma_f64 v[179:180], v[205:206], s[14:15], v[116:117]
	;; [unrolled: 1-line block ×4, first 2 shown]
	v_add_f64 v[183:184], v[183:184], v[134:135]
	v_fma_f64 v[132:133], v[185:186], s[16:17], v[132:133]
	v_fma_f64 v[187:188], v[185:186], s[0:1], v[118:119]
	v_add_f64 v[140:141], v[140:141], v[148:149]
	v_add_f64 v[126:127], v[134:135], -v[126:127]
	v_add_f64 v[134:135], v[142:143], -v[150:151]
	v_fma_f64 v[118:119], v[185:186], s[14:15], v[118:119]
	v_fma_f64 v[130:131], v[205:206], s[16:17], v[130:131]
	;; [unrolled: 1-line block ×3, first 2 shown]
	v_add_f64 v[120:121], v[120:121], v[124:125]
	v_fma_f64 v[116:117], v[203:204], s[16:17], v[116:117]
	v_fma_f64 v[128:129], v[185:186], s[2:3], v[128:129]
	;; [unrolled: 1-line block ×4, first 2 shown]
	v_add_f64 v[126:127], v[126:127], v[134:135]
	v_fma_f64 v[118:119], v[138:139], s[2:3], v[118:119]
	v_fma_f64 v[130:131], v[136:137], s[4:5], v[130:131]
	v_fma_f64 v[136:137], v[120:121], s[4:5], v[179:180]
	v_fma_f64 v[138:139], v[120:121], s[4:5], v[116:117]
	v_fma_f64 v[120:121], v[140:141], s[4:5], v[128:129]
	v_mul_f64 v[128:129], v[132:133], s[2:3]
	v_add_f64 v[134:135], v[183:184], v[142:143]
	v_fma_f64 v[124:125], v[126:127], s[4:5], v[124:125]
	v_fma_f64 v[118:119], v[126:127], s[4:5], v[118:119]
	v_mul_f64 v[140:141], v[130:131], s[18:19]
	v_add_f64 v[116:117], v[144:145], v[181:182]
	v_mul_f64 v[179:180], v[120:121], s[18:19]
	v_fma_f64 v[148:149], v[122:123], s[18:19], v[128:129]
	v_mul_f64 v[122:123], v[122:123], s[16:17]
	v_mul_f64 v[126:127], v[124:125], s[0:1]
	;; [unrolled: 1-line block ×3, first 2 shown]
	v_add_f64 v[142:143], v[134:135], v[150:151]
	v_mul_f64 v[134:135], v[138:139], s[4:5]
	v_mul_f64 v[150:151], v[118:119], s[4:5]
	v_fma_f64 v[187:188], v[120:121], s[2:3], -v[140:141]
	v_fma_f64 v[179:180], v[130:131], s[16:17], -v[179:180]
	v_fma_f64 v[189:190], v[132:133], s[18:19], v[122:123]
	v_fma_f64 v[183:184], v[136:137], s[4:5], v[126:127]
	;; [unrolled: 1-line block ×3, first 2 shown]
	v_add_f64 v[120:121], v[173:174], v[148:149]
	v_fma_f64 v[185:186], v[118:119], s[0:1], -v[134:135]
	v_fma_f64 v[150:151], v[138:139], s[14:15], -v[150:151]
	v_add_f64 v[118:119], v[146:147], v[142:143]
	v_add_f64 v[132:133], v[169:170], v[187:188]
	;; [unrolled: 1-line block ×8, first 2 shown]
	v_add_f64 v[136:137], v[144:145], -v[181:182]
	v_add_f64 v[138:139], v[146:147], -v[142:143]
	;; [unrolled: 1-line block ×10, first 2 shown]
	ds_write_b128 v156, v[116:119]
	ds_write_b128 v156, v[120:123] offset:144
	ds_write_b128 v156, v[124:127] offset:288
	;; [unrolled: 1-line block ×9, first 2 shown]
	s_waitcnt lgkmcnt(0)
	; wave barrier
	s_waitcnt lgkmcnt(0)
	global_load_dwordx4 v[117:120], v[153:154], off offset:1440
	s_add_u32 s0, s12, 0x5a0
	s_addc_u32 s1, s13, 0
	v_lshlrev_b32_e32 v116, 4, v155
	global_load_dwordx4 v[121:124], v116, s[0:1] offset:480
	global_load_dwordx4 v[125:128], v116, s[0:1] offset:960
	;; [unrolled: 1-line block ×8, first 2 shown]
	ds_read_b128 v[171:174], v156
	ds_read_b128 v[175:178], v156 offset:144
	ds_read_b128 v[179:182], v156 offset:480
	;; [unrolled: 1-line block ×5, first 2 shown]
	s_waitcnt vmcnt(6) lgkmcnt(2)
	v_mul_f64 v[195:196], v[185:186], v[127:128]
	v_mul_f64 v[127:128], v[183:184], v[127:128]
	;; [unrolled: 1-line block ×4, first 2 shown]
	s_waitcnt vmcnt(5)
	v_mul_f64 v[197:198], v[177:178], v[131:132]
	v_mul_f64 v[131:132], v[175:176], v[131:132]
	s_waitcnt vmcnt(4) lgkmcnt(0)
	v_mul_f64 v[199:200], v[193:194], v[135:136]
	v_mul_f64 v[135:136], v[191:192], v[135:136]
	v_fma_f64 v[171:172], v[171:172], v[117:118], -v[149:150]
	v_fma_f64 v[173:174], v[173:174], v[117:118], v[119:120]
	ds_read_b128 v[117:120], v156 offset:288
	v_mul_f64 v[149:150], v[181:182], v[123:124]
	v_mul_f64 v[123:124], v[179:180], v[123:124]
	ds_write_b128 v156, v[171:174]
	ds_read_b128 v[171:174], v156 offset:768
	v_fma_f64 v[179:180], v[179:180], v[121:122], -v[149:150]
	v_fma_f64 v[181:182], v[181:182], v[121:122], v[123:124]
	v_fma_f64 v[121:122], v[183:184], v[125:126], -v[195:196]
	v_fma_f64 v[123:124], v[185:186], v[125:126], v[127:128]
	;; [unrolled: 2-line block ×4, first 2 shown]
	ds_read_b128 v[133:136], v156 offset:1248
	s_waitcnt vmcnt(3)
	v_mul_f64 v[149:150], v[189:190], v[139:140]
	v_mul_f64 v[139:140], v[187:188], v[139:140]
	s_waitcnt vmcnt(2) lgkmcnt(3)
	v_mul_f64 v[175:176], v[119:120], v[143:144]
	v_mul_f64 v[143:144], v[117:118], v[143:144]
	s_waitcnt vmcnt(1) lgkmcnt(1)
	;; [unrolled: 3-line block ×3, first 2 shown]
	v_mul_f64 v[185:186], v[135:136], v[169:170]
	v_mul_f64 v[169:170], v[133:134], v[169:170]
	v_fma_f64 v[147:148], v[187:188], v[137:138], -v[149:150]
	v_fma_f64 v[149:150], v[189:190], v[137:138], v[139:140]
	v_fma_f64 v[117:118], v[117:118], v[141:142], -v[175:176]
	v_fma_f64 v[119:120], v[119:120], v[141:142], v[143:144]
	;; [unrolled: 2-line block ×4, first 2 shown]
	ds_write_b128 v156, v[179:182] offset:480
	ds_write_b128 v156, v[121:124] offset:960
	;; [unrolled: 1-line block ×8, first 2 shown]
	s_and_saveexec_b64 s[2:3], vcc
	s_cbranch_execz .LBB0_13
; %bb.12:
	v_mov_b32_e32 v117, s1
	v_add_co_u32_e64 v124, s[0:1], s0, v116
	v_addc_co_u32_e64 v125, s[0:1], 0, v117, s[0:1]
	global_load_dwordx4 v[116:119], v[124:125], off offset:432
	global_load_dwordx4 v[120:123], v[124:125], off offset:912
	s_nop 0
	global_load_dwordx4 v[124:127], v[124:125], off offset:1392
	ds_read_b128 v[128:131], v156 offset:432
	ds_read_b128 v[132:135], v156 offset:912
	;; [unrolled: 1-line block ×3, first 2 shown]
	s_waitcnt vmcnt(2) lgkmcnt(2)
	v_mul_f64 v[140:141], v[130:131], v[118:119]
	v_mul_f64 v[118:119], v[128:129], v[118:119]
	s_waitcnt vmcnt(1) lgkmcnt(1)
	v_mul_f64 v[142:143], v[134:135], v[122:123]
	v_mul_f64 v[122:123], v[132:133], v[122:123]
	;; [unrolled: 3-line block ×3, first 2 shown]
	v_fma_f64 v[126:127], v[128:129], v[116:117], -v[140:141]
	v_fma_f64 v[128:129], v[130:131], v[116:117], v[118:119]
	v_fma_f64 v[116:117], v[132:133], v[120:121], -v[142:143]
	v_fma_f64 v[118:119], v[134:135], v[120:121], v[122:123]
	;; [unrolled: 2-line block ×3, first 2 shown]
	ds_write_b128 v156, v[126:129] offset:432
	ds_write_b128 v156, v[116:119] offset:912
	;; [unrolled: 1-line block ×3, first 2 shown]
.LBB0_13:
	s_or_b64 exec, exec, s[2:3]
	s_waitcnt lgkmcnt(0)
	; wave barrier
	s_waitcnt lgkmcnt(0)
	ds_read_b128 v[140:143], v156
	ds_read_b128 v[132:135], v156 offset:144
	ds_read_b128 v[144:147], v156 offset:960
	;; [unrolled: 1-line block ×8, first 2 shown]
	s_and_saveexec_b64 s[0:1], vcc
	s_cbranch_execz .LBB0_15
; %bb.14:
	ds_read_b128 v[112:115], v156 offset:432
	ds_read_b128 v[104:107], v156 offset:912
	;; [unrolled: 1-line block ×3, first 2 shown]
.LBB0_15:
	s_or_b64 exec, exec, s[0:1]
	s_waitcnt lgkmcnt(4)
	v_add_f64 v[167:168], v[148:149], v[144:145]
	v_add_f64 v[169:170], v[140:141], v[148:149]
	v_add_f64 v[171:172], v[150:151], -v[146:147]
	v_add_f64 v[173:174], v[150:151], v[146:147]
	s_mov_b32 s0, 0xe8584caa
	s_mov_b32 s1, 0xbfebb67a
	;; [unrolled: 1-line block ×4, first 2 shown]
	v_fma_f64 v[167:168], v[167:168], -0.5, v[140:141]
	v_add_f64 v[150:151], v[142:143], v[150:151]
	v_add_f64 v[175:176], v[148:149], -v[144:145]
	s_waitcnt lgkmcnt(2)
	v_add_f64 v[177:178], v[136:137], v[128:129]
	v_add_f64 v[140:141], v[169:170], v[144:145]
	v_fma_f64 v[169:170], v[173:174], -0.5, v[142:143]
	s_waitcnt lgkmcnt(0)
	v_add_f64 v[179:180], v[124:125], v[116:117]
	v_fma_f64 v[144:145], v[171:172], s[0:1], v[167:168]
	v_fma_f64 v[148:149], v[171:172], s[2:3], v[167:168]
	v_add_f64 v[167:168], v[138:139], v[130:131]
	v_add_f64 v[171:172], v[132:133], v[136:137]
	;; [unrolled: 1-line block ×3, first 2 shown]
	v_fma_f64 v[173:174], v[177:178], -0.5, v[132:133]
	v_add_f64 v[177:178], v[138:139], -v[130:131]
	v_fma_f64 v[146:147], v[175:176], s[2:3], v[169:170]
	v_fma_f64 v[150:151], v[175:176], s[0:1], v[169:170]
	v_add_f64 v[138:139], v[134:135], v[138:139]
	v_fma_f64 v[167:168], v[167:168], -0.5, v[134:135]
	v_add_f64 v[169:170], v[136:137], -v[128:129]
	v_add_f64 v[128:129], v[171:172], v[128:129]
	v_add_f64 v[171:172], v[120:121], v[124:125]
	v_fma_f64 v[175:176], v[179:180], -0.5, v[120:121]
	v_add_f64 v[179:180], v[126:127], -v[118:119]
	v_fma_f64 v[132:133], v[177:178], s[0:1], v[173:174]
	v_add_f64 v[130:131], v[138:139], v[130:131]
	v_fma_f64 v[136:137], v[177:178], s[2:3], v[173:174]
	v_fma_f64 v[134:135], v[169:170], s[2:3], v[167:168]
	;; [unrolled: 1-line block ×3, first 2 shown]
	v_add_f64 v[120:121], v[171:172], v[116:117]
	v_add_f64 v[169:170], v[104:105], v[108:109]
	v_fma_f64 v[167:168], v[179:180], s[0:1], v[175:176]
	v_fma_f64 v[171:172], v[179:180], s[2:3], v[175:176]
	v_add_f64 v[175:176], v[106:107], v[110:111]
	v_add_f64 v[173:174], v[126:127], v[118:119]
	v_add_f64 v[116:117], v[124:125], -v[116:117]
	v_add_f64 v[124:125], v[112:113], v[104:105]
	v_add_f64 v[177:178], v[106:107], -v[110:111]
	v_fma_f64 v[112:113], v[169:170], -0.5, v[112:113]
	v_add_f64 v[106:107], v[114:115], v[106:107]
	v_add_f64 v[126:127], v[122:123], v[126:127]
	v_fma_f64 v[114:115], v[175:176], -0.5, v[114:115]
	v_add_f64 v[175:176], v[104:105], -v[108:109]
	v_fma_f64 v[173:174], v[173:174], -0.5, v[122:123]
	v_add_f64 v[104:105], v[124:125], v[108:109]
	; wave barrier
	v_fma_f64 v[108:109], v[177:178], s[0:1], v[112:113]
	v_fma_f64 v[112:113], v[177:178], s[2:3], v[112:113]
	v_add_f64 v[106:107], v[106:107], v[110:111]
	v_add_f64 v[122:123], v[126:127], v[118:119]
	v_fma_f64 v[110:111], v[175:176], s[2:3], v[114:115]
	v_fma_f64 v[114:115], v[175:176], s[0:1], v[114:115]
	;; [unrolled: 1-line block ×4, first 2 shown]
	ds_write_b128 v160, v[140:143]
	ds_write_b128 v160, v[144:147] offset:16
	ds_write_b128 v160, v[148:151] offset:32
	ds_write_b128 v161, v[128:131]
	ds_write_b128 v161, v[132:135] offset:16
	ds_write_b128 v161, v[136:139] offset:32
	;; [unrolled: 3-line block ×3, first 2 shown]
	s_and_saveexec_b64 s[0:1], vcc
	s_cbranch_execz .LBB0_17
; %bb.16:
	v_lshl_add_u32 v116, v163, 4, v158
	ds_write_b128 v116, v[104:107]
	ds_write_b128 v116, v[108:111] offset:16
	ds_write_b128 v116, v[112:115] offset:32
.LBB0_17:
	s_or_b64 exec, exec, s[0:1]
	s_waitcnt lgkmcnt(0)
	; wave barrier
	s_waitcnt lgkmcnt(0)
	ds_read_b128 v[124:127], v156
	ds_read_b128 v[120:123], v156 offset:144
	ds_read_b128 v[144:147], v156 offset:960
	;; [unrolled: 1-line block ×8, first 2 shown]
	s_and_saveexec_b64 s[0:1], vcc
	s_cbranch_execz .LBB0_19
; %bb.18:
	ds_read_b128 v[104:107], v156 offset:432
	ds_read_b128 v[108:111], v156 offset:912
	;; [unrolled: 1-line block ×3, first 2 shown]
.LBB0_19:
	s_or_b64 exec, exec, s[0:1]
	s_waitcnt lgkmcnt(4)
	v_mul_f64 v[160:161], v[50:51], v[150:151]
	v_mul_f64 v[162:163], v[46:47], v[146:147]
	;; [unrolled: 1-line block ×4, first 2 shown]
	s_waitcnt lgkmcnt(2)
	v_mul_f64 v[167:168], v[66:67], v[142:143]
	v_mul_f64 v[169:170], v[62:63], v[134:135]
	;; [unrolled: 1-line block ×4, first 2 shown]
	v_fma_f64 v[148:149], v[48:49], v[148:149], v[160:161]
	v_fma_f64 v[144:145], v[44:45], v[144:145], v[162:163]
	s_waitcnt lgkmcnt(1)
	v_mul_f64 v[160:161], v[58:59], v[138:139]
	v_mul_f64 v[58:59], v[58:59], v[136:137]
	s_waitcnt lgkmcnt(0)
	v_mul_f64 v[162:163], v[54:55], v[130:131]
	v_mul_f64 v[54:55], v[54:55], v[128:129]
	v_fma_f64 v[50:51], v[48:49], v[150:151], -v[50:51]
	v_fma_f64 v[46:47], v[44:45], v[146:147], -v[46:47]
	v_fma_f64 v[140:141], v[64:65], v[140:141], v[167:168]
	v_add_f64 v[44:45], v[148:149], v[144:145]
	v_fma_f64 v[132:133], v[60:61], v[132:133], v[169:170]
	v_fma_f64 v[66:67], v[64:65], v[142:143], -v[66:67]
	v_fma_f64 v[62:63], v[60:61], v[134:135], -v[62:63]
	v_add_f64 v[48:49], v[124:125], v[148:149]
	v_fma_f64 v[134:135], v[56:57], v[136:137], v[160:161]
	v_fma_f64 v[58:59], v[56:57], v[138:139], -v[58:59]
	v_add_f64 v[64:65], v[50:51], v[46:47]
	v_fma_f64 v[56:57], v[44:45], -0.5, v[124:125]
	v_fma_f64 v[124:125], v[52:53], v[128:129], v[162:163]
	v_fma_f64 v[128:129], v[52:53], v[130:131], -v[54:55]
	v_add_f64 v[52:53], v[140:141], v[132:133]
	v_add_f64 v[60:61], v[50:51], -v[46:47]
	v_add_f64 v[50:51], v[126:127], v[50:51]
	v_add_f64 v[130:131], v[66:67], -v[62:63]
	v_fma_f64 v[54:55], v[64:65], -0.5, v[126:127]
	v_add_f64 v[64:65], v[148:149], -v[144:145]
	v_add_f64 v[126:127], v[120:121], v[140:141]
	v_add_f64 v[136:137], v[66:67], v[62:63]
	v_fma_f64 v[120:121], v[52:53], -0.5, v[120:121]
	s_mov_b32 s0, 0xe8584caa
	s_mov_b32 s1, 0xbfebb67a
	;; [unrolled: 1-line block ×3, first 2 shown]
	v_add_f64 v[44:45], v[48:49], v[144:145]
	v_fma_f64 v[48:49], v[60:61], s[0:1], v[56:57]
	v_fma_f64 v[52:53], v[60:61], s[2:3], v[56:57]
	v_add_f64 v[46:47], v[50:51], v[46:47]
	v_fma_f64 v[50:51], v[64:65], s[2:3], v[54:55]
	v_fma_f64 v[54:55], v[64:65], s[0:1], v[54:55]
	v_add_f64 v[56:57], v[126:127], v[132:133]
	v_add_f64 v[126:127], v[134:135], v[124:125]
	v_fma_f64 v[60:61], v[130:131], s[0:1], v[120:121]
	v_fma_f64 v[64:65], v[130:131], s[2:3], v[120:121]
	v_add_f64 v[120:121], v[58:59], v[128:129]
	v_add_f64 v[66:67], v[122:123], v[66:67]
	v_fma_f64 v[122:123], v[136:137], -0.5, v[122:123]
	v_add_f64 v[130:131], v[140:141], -v[132:133]
	v_add_f64 v[132:133], v[116:117], v[134:135]
	v_add_f64 v[138:139], v[118:119], v[58:59]
	v_fma_f64 v[126:127], v[126:127], -0.5, v[116:117]
	v_add_f64 v[136:137], v[58:59], -v[128:129]
	v_fma_f64 v[140:141], v[120:121], -0.5, v[118:119]
	v_add_f64 v[134:135], v[134:135], -v[124:125]
	v_add_f64 v[58:59], v[66:67], v[62:63]
	v_fma_f64 v[62:63], v[130:131], s[2:3], v[122:123]
	v_fma_f64 v[66:67], v[130:131], s[0:1], v[122:123]
	v_add_f64 v[116:117], v[132:133], v[124:125]
	v_add_f64 v[118:119], v[138:139], v[128:129]
	v_fma_f64 v[120:121], v[136:137], s[0:1], v[126:127]
	v_fma_f64 v[124:125], v[136:137], s[2:3], v[126:127]
	;; [unrolled: 1-line block ×4, first 2 shown]
	s_waitcnt lgkmcnt(0)
	; wave barrier
	ds_write_b128 v164, v[44:47]
	ds_write_b128 v164, v[48:51] offset:48
	ds_write_b128 v164, v[52:55] offset:96
	ds_write_b128 v165, v[56:59]
	ds_write_b128 v165, v[60:63] offset:48
	ds_write_b128 v165, v[64:67] offset:96
	;; [unrolled: 3-line block ×3, first 2 shown]
	s_and_saveexec_b64 s[4:5], vcc
	s_cbranch_execz .LBB0_21
; %bb.20:
	v_mul_f64 v[44:45], v[42:43], v[108:109]
	v_mul_f64 v[46:47], v[38:39], v[112:113]
	;; [unrolled: 1-line block ×4, first 2 shown]
	v_fma_f64 v[44:45], v[40:41], v[110:111], -v[44:45]
	v_fma_f64 v[46:47], v[36:37], v[114:115], -v[46:47]
	v_fma_f64 v[40:41], v[40:41], v[108:109], v[42:43]
	v_fma_f64 v[36:37], v[36:37], v[112:113], v[38:39]
	v_add_f64 v[50:51], v[106:107], v[44:45]
	v_add_f64 v[38:39], v[44:45], v[46:47]
	v_add_f64 v[54:55], v[44:45], -v[46:47]
	v_add_f64 v[42:43], v[40:41], v[36:37]
	v_add_f64 v[48:49], v[40:41], -v[36:37]
	v_add_f64 v[40:41], v[104:105], v[40:41]
	v_fma_f64 v[52:53], v[38:39], -0.5, v[106:107]
	v_add_f64 v[38:39], v[50:51], v[46:47]
	v_fma_f64 v[56:57], v[42:43], -0.5, v[104:105]
	v_add_f64 v[36:37], v[40:41], v[36:37]
	v_fma_f64 v[46:47], v[48:49], s[2:3], v[52:53]
	v_fma_f64 v[42:43], v[48:49], s[0:1], v[52:53]
	;; [unrolled: 1-line block ×4, first 2 shown]
	v_and_b32_e32 v48, 0xff, v159
	v_lshl_add_u32 v48, v48, 4, v158
	ds_write_b128 v48, v[36:39] offset:1296
	ds_write_b128 v48, v[44:47] offset:1344
	;; [unrolled: 1-line block ×3, first 2 shown]
.LBB0_21:
	s_or_b64 exec, exec, s[4:5]
	s_waitcnt lgkmcnt(0)
	; wave barrier
	s_waitcnt lgkmcnt(0)
	ds_read_b128 v[38:41], v156
	ds_read_b128 v[42:45], v156 offset:144
	ds_read_b128 v[46:49], v156 offset:288
	ds_read_b128 v[50:53], v156 offset:432
	ds_read_b128 v[54:57], v156 offset:576
	ds_read_b128 v[58:61], v156 offset:720
	s_waitcnt lgkmcnt(4)
	v_mul_f64 v[66:67], v[86:87], v[44:45]
	v_mul_f64 v[86:87], v[86:87], v[42:43]
	s_waitcnt lgkmcnt(3)
	v_mul_f64 v[116:117], v[78:79], v[48:49]
	v_mul_f64 v[78:79], v[78:79], v[46:47]
	ds_read_b128 v[62:65], v156 offset:864
	ds_read_b128 v[104:107], v156 offset:1008
	;; [unrolled: 1-line block ×4, first 2 shown]
	v_mad_u64_u32 v[36:37], s[0:1], s10, v152, 0
	v_fma_f64 v[42:43], v[84:85], v[42:43], v[66:67]
	v_fma_f64 v[44:45], v[84:85], v[44:45], -v[86:87]
	s_waitcnt lgkmcnt(6)
	v_mul_f64 v[66:67], v[74:75], v[52:53]
	v_mul_f64 v[74:75], v[74:75], v[50:51]
	v_fma_f64 v[46:47], v[76:77], v[46:47], v[116:117]
	s_waitcnt lgkmcnt(5)
	v_mul_f64 v[84:85], v[70:71], v[56:57]
	v_fma_f64 v[48:49], v[76:77], v[48:49], -v[78:79]
	v_mul_f64 v[70:71], v[70:71], v[54:55]
	s_waitcnt lgkmcnt(3)
	v_mul_f64 v[78:79], v[90:91], v[64:65]
	v_mul_f64 v[76:77], v[98:99], v[60:61]
	v_fma_f64 v[50:51], v[72:73], v[50:51], v[66:67]
	v_fma_f64 v[52:53], v[72:73], v[52:53], -v[74:75]
	v_mul_f64 v[66:67], v[98:99], v[58:59]
	v_fma_f64 v[54:55], v[68:69], v[54:55], v[84:85]
	v_add_f64 v[72:73], v[38:39], v[46:47]
	v_fma_f64 v[56:57], v[68:69], v[56:57], -v[70:71]
	v_fma_f64 v[68:69], v[88:89], v[62:63], v[78:79]
	s_waitcnt lgkmcnt(1)
	v_mul_f64 v[70:71], v[94:95], v[108:109]
	v_mul_f64 v[74:75], v[94:95], v[110:111]
	v_fma_f64 v[58:59], v[96:97], v[58:59], v[76:77]
	v_fma_f64 v[60:61], v[96:97], v[60:61], -v[66:67]
	v_mul_f64 v[62:63], v[90:91], v[62:63]
	v_add_f64 v[66:67], v[72:73], v[54:55]
	v_mul_f64 v[72:73], v[82:83], v[106:107]
	v_mul_f64 v[76:77], v[82:83], v[104:105]
	v_add_f64 v[78:79], v[54:55], v[68:69]
	v_fma_f64 v[70:71], v[92:93], v[110:111], -v[70:71]
	v_fma_f64 v[74:75], v[92:93], v[108:109], v[74:75]
	s_waitcnt lgkmcnt(0)
	v_mul_f64 v[82:83], v[102:103], v[114:115]
	v_mul_f64 v[84:85], v[102:103], v[112:113]
	v_fma_f64 v[62:63], v[88:89], v[64:65], -v[62:63]
	v_fma_f64 v[64:65], v[80:81], v[104:105], v[72:73]
	v_fma_f64 v[76:77], v[80:81], v[106:107], -v[76:77]
	v_fma_f64 v[72:73], v[78:79], -0.5, v[38:39]
	v_add_f64 v[78:79], v[48:49], -v[70:71]
	s_mov_b32 s2, 0x134454ff
	v_fma_f64 v[80:81], v[100:101], v[112:113], v[82:83]
	v_fma_f64 v[82:83], v[100:101], v[114:115], -v[84:85]
	v_add_f64 v[84:85], v[46:47], v[74:75]
	s_mov_b32 s3, 0xbfee6f0e
	s_mov_b32 s1, 0x3fee6f0e
	;; [unrolled: 1-line block ×3, first 2 shown]
	v_fma_f64 v[86:87], v[78:79], s[2:3], v[72:73]
	v_add_f64 v[88:89], v[56:57], -v[62:63]
	v_add_f64 v[90:91], v[46:47], -v[54:55]
	;; [unrolled: 1-line block ×3, first 2 shown]
	v_fma_f64 v[72:73], v[78:79], s[0:1], v[72:73]
	v_fma_f64 v[38:39], v[84:85], -0.5, v[38:39]
	s_mov_b32 s14, 0x4755a5e
	s_mov_b32 s15, 0xbfe2cf23
	;; [unrolled: 1-line block ×4, first 2 shown]
	v_add_f64 v[66:67], v[66:67], v[68:69]
	v_fma_f64 v[84:85], v[88:89], s[14:15], v[86:87]
	v_add_f64 v[86:87], v[90:91], v[92:93]
	v_add_f64 v[90:91], v[56:57], v[62:63]
	v_fma_f64 v[72:73], v[88:89], s[4:5], v[72:73]
	v_fma_f64 v[92:93], v[88:89], s[0:1], v[38:39]
	v_add_f64 v[94:95], v[54:55], -v[46:47]
	v_add_f64 v[96:97], v[68:69], -v[74:75]
	v_add_f64 v[98:99], v[40:41], v[48:49]
	v_fma_f64 v[38:39], v[88:89], s[2:3], v[38:39]
	s_mov_b32 s12, 0x372fe950
	s_mov_b32 s13, 0x3fd3c6ef
	v_add_f64 v[66:67], v[66:67], v[74:75]
	v_fma_f64 v[90:91], v[90:91], -0.5, v[40:41]
	v_add_f64 v[46:47], v[46:47], -v[74:75]
	v_fma_f64 v[74:75], v[86:87], s[12:13], v[84:85]
	v_fma_f64 v[72:73], v[86:87], s[12:13], v[72:73]
	;; [unrolled: 1-line block ×3, first 2 shown]
	v_add_f64 v[86:87], v[94:95], v[96:97]
	v_add_f64 v[88:89], v[98:99], v[56:57]
	v_fma_f64 v[38:39], v[78:79], s[4:5], v[38:39]
	v_add_f64 v[54:55], v[54:55], -v[68:69]
	v_fma_f64 v[92:93], v[46:47], s[0:1], v[90:91]
	v_add_f64 v[68:69], v[48:49], -v[56:57]
	v_add_f64 v[94:95], v[70:71], -v[62:63]
	v_fma_f64 v[90:91], v[46:47], s[2:3], v[90:91]
	v_add_f64 v[96:97], v[48:49], v[70:71]
	v_add_f64 v[78:79], v[88:89], v[62:63]
	v_fma_f64 v[84:85], v[86:87], s[12:13], v[84:85]
	v_add_f64 v[88:89], v[58:59], v[64:65]
	v_fma_f64 v[86:87], v[86:87], s[12:13], v[38:39]
	;; [unrolled: 2-line block ×4, first 2 shown]
	v_fma_f64 v[40:41], v[96:97], -0.5, v[40:41]
	v_add_f64 v[94:95], v[52:53], -v[82:83]
	v_fma_f64 v[88:89], v[88:89], -0.5, v[42:43]
	v_add_f64 v[78:79], v[78:79], v[70:71]
	v_add_f64 v[38:39], v[38:39], v[58:59]
	v_add_f64 v[48:49], v[56:57], -v[48:49]
	v_fma_f64 v[92:93], v[68:69], s[12:13], v[92:93]
	v_fma_f64 v[90:91], v[68:69], s[12:13], v[90:91]
	;; [unrolled: 1-line block ×3, first 2 shown]
	v_add_f64 v[56:57], v[62:63], -v[70:71]
	v_fma_f64 v[40:41], v[54:55], s[0:1], v[40:41]
	v_fma_f64 v[54:55], v[94:95], s[2:3], v[88:89]
	v_add_f64 v[62:63], v[60:61], -v[76:77]
	v_add_f64 v[70:71], v[50:51], -v[58:59]
	;; [unrolled: 1-line block ×3, first 2 shown]
	v_add_f64 v[98:99], v[50:51], v[80:81]
	v_add_f64 v[100:101], v[60:61], v[76:77]
	;; [unrolled: 1-line block ×3, first 2 shown]
	v_fma_f64 v[68:69], v[46:47], s[4:5], v[68:69]
	v_add_f64 v[48:49], v[48:49], v[56:57]
	v_fma_f64 v[40:41], v[46:47], s[14:15], v[40:41]
	v_fma_f64 v[46:47], v[62:63], s[14:15], v[54:55]
	v_add_f64 v[54:55], v[70:71], v[96:97]
	v_fma_f64 v[42:43], v[98:99], -0.5, v[42:43]
	v_fma_f64 v[56:57], v[94:95], s[0:1], v[88:89]
	v_fma_f64 v[70:71], v[100:101], -0.5, v[44:45]
	v_add_f64 v[88:89], v[50:51], -v[80:81]
	v_add_f64 v[98:99], v[38:39], v[80:81]
	v_add_f64 v[38:39], v[52:53], v[82:83]
	v_fma_f64 v[68:69], v[48:49], s[12:13], v[68:69]
	v_fma_f64 v[96:97], v[48:49], s[12:13], v[40:41]
	v_add_f64 v[100:101], v[58:59], -v[64:65]
	v_fma_f64 v[48:49], v[62:63], s[4:5], v[56:57]
	v_add_f64 v[102:103], v[52:53], -v[60:61]
	;; [unrolled: 2-line block ×3, first 2 shown]
	v_fma_f64 v[38:39], v[38:39], -0.5, v[44:45]
	v_add_f64 v[44:45], v[44:45], v[52:53]
	v_fma_f64 v[40:41], v[62:63], s[0:1], v[42:43]
	v_add_f64 v[50:51], v[58:59], -v[50:51]
	v_add_f64 v[58:59], v[64:65], -v[80:81]
	v_fma_f64 v[42:43], v[62:63], s[2:3], v[42:43]
	v_fma_f64 v[56:57], v[100:101], s[4:5], v[56:57]
	v_add_f64 v[62:63], v[102:103], v[104:105]
	v_fma_f64 v[64:65], v[100:101], s[2:3], v[38:39]
	v_add_f64 v[52:53], v[60:61], -v[52:53]
	v_add_f64 v[80:81], v[76:77], -v[82:83]
	v_fma_f64 v[38:39], v[100:101], s[0:1], v[38:39]
	v_add_f64 v[44:45], v[44:45], v[60:61]
	v_fma_f64 v[60:61], v[88:89], s[2:3], v[70:71]
	v_fma_f64 v[40:41], v[94:95], s[14:15], v[40:41]
	v_add_f64 v[50:51], v[50:51], v[58:59]
	v_fma_f64 v[42:43], v[94:95], s[4:5], v[42:43]
	v_fma_f64 v[56:57], v[62:63], s[12:13], v[56:57]
	;; [unrolled: 1-line block ×3, first 2 shown]
	v_add_f64 v[52:53], v[52:53], v[80:81]
	v_fma_f64 v[38:39], v[88:89], s[14:15], v[38:39]
	v_add_f64 v[44:45], v[44:45], v[76:77]
	v_fma_f64 v[60:61], v[100:101], s[14:15], v[60:61]
	v_fma_f64 v[46:47], v[54:55], s[12:13], v[46:47]
	;; [unrolled: 1-line block ×5, first 2 shown]
	v_mul_f64 v[42:43], v[56:57], s[14:15]
	v_fma_f64 v[54:55], v[52:53], s[12:13], v[58:59]
	v_fma_f64 v[52:53], v[52:53], s[12:13], v[38:39]
	v_add_f64 v[64:65], v[44:45], v[82:83]
	v_fma_f64 v[44:45], v[62:63], s[12:13], v[60:61]
	s_mov_b32 s16, 0x9b97f4a8
	s_mov_b32 s17, 0x3fe9e377
	v_mul_f64 v[56:57], v[56:57], s[16:17]
	v_fma_f64 v[60:61], v[46:47], s[16:17], v[42:43]
	v_mul_f64 v[42:43], v[54:55], s[2:3]
	v_mul_f64 v[58:59], v[52:53], s[2:3]
	s_mov_b32 s3, 0xbfd3c6ef
	s_mov_b32 s2, s12
	v_mul_f64 v[54:55], v[54:55], s[12:13]
	v_mul_f64 v[62:63], v[44:45], s[14:15]
	s_mov_b32 s15, 0xbfe9e377
	s_mov_b32 s14, s16
	v_mul_f64 v[52:53], v[52:53], s[2:3]
	v_mul_f64 v[44:45], v[44:45], s[14:15]
	v_fma_f64 v[82:83], v[46:47], s[4:5], v[56:57]
	v_fma_f64 v[70:71], v[40:41], s[12:13], v[42:43]
	;; [unrolled: 1-line block ×5, first 2 shown]
	v_add_f64 v[38:39], v[66:67], v[98:99]
	v_fma_f64 v[94:95], v[50:51], s[0:1], v[52:53]
	v_fma_f64 v[100:101], v[48:49], s[4:5], v[44:45]
	v_add_f64 v[40:41], v[78:79], v[64:65]
	v_add_f64 v[42:43], v[74:75], v[60:61]
	;; [unrolled: 1-line block ×9, first 2 shown]
	v_add_f64 v[58:59], v[66:67], -v[98:99]
	v_add_f64 v[62:63], v[74:75], -v[60:61]
	;; [unrolled: 1-line block ×10, first 2 shown]
	ds_write_b128 v156, v[38:41]
	ds_write_b128 v156, v[42:45] offset:144
	ds_write_b128 v156, v[46:49] offset:288
	;; [unrolled: 1-line block ×9, first 2 shown]
	s_waitcnt lgkmcnt(0)
	; wave barrier
	s_waitcnt lgkmcnt(0)
	ds_read_b128 v[38:41], v156
	ds_read_b128 v[42:45], v156 offset:144
	v_mad_u64_u32 v[50:51], s[0:1], s8, v155, 0
	s_mov_b32 s2, 0x16c16c17
	s_waitcnt lgkmcnt(1)
	v_mul_f64 v[46:47], v[30:31], v[40:41]
	v_mul_f64 v[30:31], v[30:31], v[38:39]
	v_mad_u64_u32 v[48:49], s[0:1], s11, v152, v[37:38]
	s_mov_b32 s3, 0x3f86c16c
	v_mov_b32_e32 v54, s7
	v_mov_b32_e32 v37, v48
	v_lshlrev_b64 v[36:37], 4, v[36:37]
	v_fma_f64 v[38:39], v[28:29], v[38:39], v[46:47]
	v_fma_f64 v[30:31], v[28:29], v[40:41], -v[30:31]
	v_mov_b32_e32 v28, v51
	v_mad_u64_u32 v[46:47], s[0:1], s9, v155, v[28:29]
	v_add_co_u32_e64 v55, s[0:1], s6, v36
	v_mov_b32_e32 v51, v46
	v_mul_f64 v[28:29], v[38:39], s[2:3]
	ds_read_b128 v[38:41], v156 offset:480
	ds_read_b128 v[46:49], v156 offset:288
	v_mul_f64 v[30:31], v[30:31], s[2:3]
	v_addc_co_u32_e64 v54, s[0:1], v54, v37, s[0:1]
	s_waitcnt lgkmcnt(1)
	v_mul_f64 v[52:53], v[2:3], v[40:41]
	v_mul_f64 v[2:3], v[2:3], v[38:39]
	v_lshlrev_b64 v[36:37], 4, v[50:51]
	v_add_co_u32_e64 v50, s[0:1], v55, v36
	v_addc_co_u32_e64 v51, s[0:1], v54, v37, s[0:1]
	v_fma_f64 v[38:39], v[0:1], v[38:39], v[52:53]
	v_fma_f64 v[40:41], v[0:1], v[40:41], -v[2:3]
	ds_read_b128 v[0:3], v156 offset:960
	global_store_dwordx4 v[50:51], v[28:31], off
	s_mul_i32 s0, s9, 30
	s_mul_hi_u32 s1, s8, 30
	s_add_i32 s1, s1, s0
	s_mul_i32 s0, s8, 30
	v_mul_f64 v[28:29], v[38:39], s[2:3]
	ds_read_b128 v[36:39], v156 offset:1104
	v_mul_f64 v[30:31], v[40:41], s[2:3]
	s_waitcnt lgkmcnt(1)
	v_mul_f64 v[40:41], v[34:35], v[2:3]
	v_mul_f64 v[34:35], v[34:35], v[0:1]
	s_lshl_b64 s[4:5], s[0:1], 4
	v_mov_b32_e32 v52, s5
	v_fma_f64 v[0:1], v[32:33], v[0:1], v[40:41]
	v_fma_f64 v[2:3], v[32:33], v[2:3], -v[34:35]
	v_mul_f64 v[32:33], v[10:11], v[44:45]
	v_add_co_u32_e64 v34, s[0:1], s4, v50
	v_addc_co_u32_e64 v35, s[0:1], v51, v52, s[0:1]
	v_mul_f64 v[10:11], v[10:11], v[42:43]
	v_mul_f64 v[0:1], v[0:1], s[2:3]
	;; [unrolled: 1-line block ×3, first 2 shown]
	global_store_dwordx4 v[34:35], v[28:31], off
	v_fma_f64 v[10:11], v[8:9], v[44:45], -v[10:11]
	v_fma_f64 v[28:29], v[8:9], v[42:43], v[32:33]
	v_add_co_u32_e64 v32, s[0:1], s4, v34
	v_addc_co_u32_e64 v33, s[0:1], v35, v52, s[0:1]
	global_store_dwordx4 v[32:33], v[0:3], off
	ds_read_b128 v[0:3], v156 offset:624
	v_mul_f64 v[10:11], v[10:11], s[2:3]
	v_mul_f64 v[8:9], v[28:29], s[2:3]
	ds_read_b128 v[28:31], v156 offset:768
	s_mul_hi_u32 s1, s8, 0xffffffcd
	s_waitcnt lgkmcnt(1)
	v_mul_f64 v[34:35], v[6:7], v[2:3]
	v_mul_f64 v[6:7], v[6:7], v[0:1]
	s_mul_i32 s0, s9, 0xffffffcd
	s_sub_i32 s1, s1, s8
	s_add_i32 s1, s1, s0
	s_mul_i32 s0, s8, 0xffffffcd
	s_lshl_b64 s[6:7], s[0:1], 4
	v_mov_b32_e32 v40, s7
	v_fma_f64 v[0:1], v[4:5], v[0:1], v[34:35]
	v_fma_f64 v[2:3], v[4:5], v[2:3], -v[6:7]
	v_mul_f64 v[4:5], v[26:27], v[38:39]
	v_mul_f64 v[6:7], v[26:27], v[36:37]
	v_add_co_u32_e64 v26, s[0:1], s6, v32
	v_addc_co_u32_e64 v27, s[0:1], v33, v40, s[0:1]
	global_store_dwordx4 v[26:27], v[8:11], off
	v_mul_f64 v[0:1], v[0:1], s[2:3]
	v_fma_f64 v[4:5], v[24:25], v[36:37], v[4:5]
	v_fma_f64 v[6:7], v[24:25], v[38:39], -v[6:7]
	v_mul_f64 v[8:9], v[22:23], v[48:49]
	v_mul_f64 v[10:11], v[22:23], v[46:47]
	;; [unrolled: 1-line block ×3, first 2 shown]
	v_add_co_u32_e64 v22, s[0:1], s4, v26
	v_addc_co_u32_e64 v23, s[0:1], v27, v52, s[0:1]
	v_mul_f64 v[4:5], v[4:5], s[2:3]
	v_mul_f64 v[6:7], v[6:7], s[2:3]
	v_fma_f64 v[8:9], v[20:21], v[46:47], v[8:9]
	v_fma_f64 v[10:11], v[20:21], v[48:49], -v[10:11]
	v_add_co_u32_e64 v20, s[0:1], s4, v22
	v_addc_co_u32_e64 v21, s[0:1], v23, v52, s[0:1]
	global_store_dwordx4 v[22:23], v[0:3], off
	global_store_dwordx4 v[20:21], v[4:7], off
	ds_read_b128 v[4:7], v156 offset:1248
	v_mul_f64 v[0:1], v[8:9], s[2:3]
	v_mul_f64 v[2:3], v[10:11], s[2:3]
	s_waitcnt lgkmcnt(1)
	v_mul_f64 v[8:9], v[14:15], v[30:31]
	v_mul_f64 v[10:11], v[14:15], v[28:29]
	s_waitcnt lgkmcnt(0)
	v_mul_f64 v[22:23], v[18:19], v[6:7]
	v_mul_f64 v[18:19], v[18:19], v[4:5]
	v_mad_u64_u32 v[14:15], s[0:1], s8, v157, 0
	v_add_co_u32_e64 v20, s[0:1], s6, v20
	v_fma_f64 v[8:9], v[12:13], v[28:29], v[8:9]
	v_fma_f64 v[10:11], v[12:13], v[30:31], -v[10:11]
	v_fma_f64 v[22:23], v[16:17], v[4:5], v[22:23]
	v_fma_f64 v[16:17], v[16:17], v[6:7], -v[18:19]
	v_mov_b32_e32 v12, v15
	v_addc_co_u32_e64 v21, s[0:1], v21, v40, s[0:1]
	v_mad_u64_u32 v[6:7], s[0:1], s9, v157, v[12:13]
	global_store_dwordx4 v[20:21], v[0:3], off
	v_mul_f64 v[4:5], v[10:11], s[2:3]
	v_mul_f64 v[2:3], v[8:9], s[2:3]
	v_mov_b32_e32 v15, v6
	v_mul_f64 v[6:7], v[22:23], s[2:3]
	v_mul_f64 v[8:9], v[16:17], s[2:3]
	v_lshlrev_b64 v[10:11], 4, v[14:15]
	v_mov_b32_e32 v0, 0x3c0
	v_mad_u64_u32 v[0:1], s[0:1], s8, v0, v[20:21]
	v_add_co_u32_e64 v10, s[0:1], v55, v10
	v_addc_co_u32_e64 v11, s[0:1], v54, v11, s[0:1]
	s_mul_i32 s0, s9, 0x3c0
	v_add_u32_e32 v1, s0, v1
	global_store_dwordx4 v[10:11], v[2:5], off
	global_store_dwordx4 v[0:1], v[6:9], off
	s_and_b64 exec, exec, vcc
	s_cbranch_execz .LBB0_23
; %bb.22:
	global_load_dwordx4 v[2:5], v[153:154], off offset:432
	global_load_dwordx4 v[6:9], v[153:154], off offset:912
	;; [unrolled: 1-line block ×3, first 2 shown]
	ds_read_b128 v[14:17], v156 offset:432
	ds_read_b128 v[18:21], v156 offset:912
	;; [unrolled: 1-line block ×3, first 2 shown]
	v_mov_b32_e32 v32, s7
	v_mov_b32_e32 v33, s5
	s_waitcnt vmcnt(2) lgkmcnt(2)
	v_mul_f64 v[26:27], v[16:17], v[4:5]
	v_mul_f64 v[4:5], v[14:15], v[4:5]
	s_waitcnt vmcnt(1) lgkmcnt(1)
	v_mul_f64 v[28:29], v[20:21], v[8:9]
	v_mul_f64 v[8:9], v[18:19], v[8:9]
	;; [unrolled: 3-line block ×3, first 2 shown]
	v_fma_f64 v[14:15], v[14:15], v[2:3], v[26:27]
	v_fma_f64 v[2:3], v[2:3], v[16:17], -v[4:5]
	v_fma_f64 v[4:5], v[18:19], v[6:7], v[28:29]
	v_fma_f64 v[6:7], v[6:7], v[20:21], -v[8:9]
	;; [unrolled: 2-line block ×3, first 2 shown]
	v_add_co_u32_e32 v12, vcc, s6, v0
	v_addc_co_u32_e32 v13, vcc, v1, v32, vcc
	v_mul_f64 v[0:1], v[14:15], s[2:3]
	v_mul_f64 v[2:3], v[2:3], s[2:3]
	;; [unrolled: 1-line block ×6, first 2 shown]
	v_add_co_u32_e32 v14, vcc, s4, v12
	v_addc_co_u32_e32 v15, vcc, v13, v33, vcc
	v_add_co_u32_e32 v16, vcc, s4, v14
	v_addc_co_u32_e32 v17, vcc, v15, v33, vcc
	global_store_dwordx4 v[12:13], v[0:3], off
	global_store_dwordx4 v[14:15], v[4:7], off
	;; [unrolled: 1-line block ×3, first 2 shown]
.LBB0_23:
	s_endpgm
	.section	.rodata,"a",@progbits
	.p2align	6, 0x0
	.amdhsa_kernel bluestein_single_fwd_len90_dim1_dp_op_CI_CI
		.amdhsa_group_segment_fixed_size 10080
		.amdhsa_private_segment_fixed_size 0
		.amdhsa_kernarg_size 104
		.amdhsa_user_sgpr_count 6
		.amdhsa_user_sgpr_private_segment_buffer 1
		.amdhsa_user_sgpr_dispatch_ptr 0
		.amdhsa_user_sgpr_queue_ptr 0
		.amdhsa_user_sgpr_kernarg_segment_ptr 1
		.amdhsa_user_sgpr_dispatch_id 0
		.amdhsa_user_sgpr_flat_scratch_init 0
		.amdhsa_user_sgpr_private_segment_size 0
		.amdhsa_uses_dynamic_stack 0
		.amdhsa_system_sgpr_private_segment_wavefront_offset 0
		.amdhsa_system_sgpr_workgroup_id_x 1
		.amdhsa_system_sgpr_workgroup_id_y 0
		.amdhsa_system_sgpr_workgroup_id_z 0
		.amdhsa_system_sgpr_workgroup_info 0
		.amdhsa_system_vgpr_workitem_id 0
		.amdhsa_next_free_vgpr 213
		.amdhsa_next_free_sgpr 20
		.amdhsa_reserve_vcc 1
		.amdhsa_reserve_flat_scratch 0
		.amdhsa_float_round_mode_32 0
		.amdhsa_float_round_mode_16_64 0
		.amdhsa_float_denorm_mode_32 3
		.amdhsa_float_denorm_mode_16_64 3
		.amdhsa_dx10_clamp 1
		.amdhsa_ieee_mode 1
		.amdhsa_fp16_overflow 0
		.amdhsa_exception_fp_ieee_invalid_op 0
		.amdhsa_exception_fp_denorm_src 0
		.amdhsa_exception_fp_ieee_div_zero 0
		.amdhsa_exception_fp_ieee_overflow 0
		.amdhsa_exception_fp_ieee_underflow 0
		.amdhsa_exception_fp_ieee_inexact 0
		.amdhsa_exception_int_div_zero 0
	.end_amdhsa_kernel
	.text
.Lfunc_end0:
	.size	bluestein_single_fwd_len90_dim1_dp_op_CI_CI, .Lfunc_end0-bluestein_single_fwd_len90_dim1_dp_op_CI_CI
                                        ; -- End function
	.section	.AMDGPU.csdata,"",@progbits
; Kernel info:
; codeLenInByte = 10620
; NumSgprs: 24
; NumVgprs: 213
; ScratchSize: 0
; MemoryBound: 0
; FloatMode: 240
; IeeeMode: 1
; LDSByteSize: 10080 bytes/workgroup (compile time only)
; SGPRBlocks: 2
; VGPRBlocks: 53
; NumSGPRsForWavesPerEU: 24
; NumVGPRsForWavesPerEU: 213
; Occupancy: 1
; WaveLimiterHint : 1
; COMPUTE_PGM_RSRC2:SCRATCH_EN: 0
; COMPUTE_PGM_RSRC2:USER_SGPR: 6
; COMPUTE_PGM_RSRC2:TRAP_HANDLER: 0
; COMPUTE_PGM_RSRC2:TGID_X_EN: 1
; COMPUTE_PGM_RSRC2:TGID_Y_EN: 0
; COMPUTE_PGM_RSRC2:TGID_Z_EN: 0
; COMPUTE_PGM_RSRC2:TIDIG_COMP_CNT: 0
	.type	__hip_cuid_cb470f00e2f00537,@object ; @__hip_cuid_cb470f00e2f00537
	.section	.bss,"aw",@nobits
	.globl	__hip_cuid_cb470f00e2f00537
__hip_cuid_cb470f00e2f00537:
	.byte	0                               ; 0x0
	.size	__hip_cuid_cb470f00e2f00537, 1

	.ident	"AMD clang version 19.0.0git (https://github.com/RadeonOpenCompute/llvm-project roc-6.4.0 25133 c7fe45cf4b819c5991fe208aaa96edf142730f1d)"
	.section	".note.GNU-stack","",@progbits
	.addrsig
	.addrsig_sym __hip_cuid_cb470f00e2f00537
	.amdgpu_metadata
---
amdhsa.kernels:
  - .args:
      - .actual_access:  read_only
        .address_space:  global
        .offset:         0
        .size:           8
        .value_kind:     global_buffer
      - .actual_access:  read_only
        .address_space:  global
        .offset:         8
        .size:           8
        .value_kind:     global_buffer
      - .actual_access:  read_only
        .address_space:  global
        .offset:         16
        .size:           8
        .value_kind:     global_buffer
      - .actual_access:  read_only
        .address_space:  global
        .offset:         24
        .size:           8
        .value_kind:     global_buffer
      - .actual_access:  read_only
        .address_space:  global
        .offset:         32
        .size:           8
        .value_kind:     global_buffer
      - .offset:         40
        .size:           8
        .value_kind:     by_value
      - .address_space:  global
        .offset:         48
        .size:           8
        .value_kind:     global_buffer
      - .address_space:  global
        .offset:         56
        .size:           8
        .value_kind:     global_buffer
      - .address_space:  global
        .offset:         64
        .size:           8
        .value_kind:     global_buffer
      - .address_space:  global
        .offset:         72
        .size:           8
        .value_kind:     global_buffer
      - .offset:         80
        .size:           4
        .value_kind:     by_value
      - .address_space:  global
        .offset:         88
        .size:           8
        .value_kind:     global_buffer
      - .address_space:  global
        .offset:         96
        .size:           8
        .value_kind:     global_buffer
    .group_segment_fixed_size: 10080
    .kernarg_segment_align: 8
    .kernarg_segment_size: 104
    .language:       OpenCL C
    .language_version:
      - 2
      - 0
    .max_flat_workgroup_size: 63
    .name:           bluestein_single_fwd_len90_dim1_dp_op_CI_CI
    .private_segment_fixed_size: 0
    .sgpr_count:     24
    .sgpr_spill_count: 0
    .symbol:         bluestein_single_fwd_len90_dim1_dp_op_CI_CI.kd
    .uniform_work_group_size: 1
    .uses_dynamic_stack: false
    .vgpr_count:     213
    .vgpr_spill_count: 0
    .wavefront_size: 64
amdhsa.target:   amdgcn-amd-amdhsa--gfx906
amdhsa.version:
  - 1
  - 2
...

	.end_amdgpu_metadata
